;; amdgpu-corpus repo=ROCm/rocFFT kind=compiled arch=gfx1030 opt=O3
	.text
	.amdgcn_target "amdgcn-amd-amdhsa--gfx1030"
	.amdhsa_code_object_version 6
	.protected	fft_rtc_back_len728_factors_13_7_8_wgs_104_tpt_104_halfLds_half_op_CI_CI_sbrr_dirReg ; -- Begin function fft_rtc_back_len728_factors_13_7_8_wgs_104_tpt_104_halfLds_half_op_CI_CI_sbrr_dirReg
	.globl	fft_rtc_back_len728_factors_13_7_8_wgs_104_tpt_104_halfLds_half_op_CI_CI_sbrr_dirReg
	.p2align	8
	.type	fft_rtc_back_len728_factors_13_7_8_wgs_104_tpt_104_halfLds_half_op_CI_CI_sbrr_dirReg,@function
fft_rtc_back_len728_factors_13_7_8_wgs_104_tpt_104_halfLds_half_op_CI_CI_sbrr_dirReg: ; @fft_rtc_back_len728_factors_13_7_8_wgs_104_tpt_104_halfLds_half_op_CI_CI_sbrr_dirReg
; %bb.0:
	s_clause 0x2
	s_load_dwordx4 s[16:19], s[4:5], 0x18
	s_load_dwordx4 s[12:15], s[4:5], 0x0
	;; [unrolled: 1-line block ×3, first 2 shown]
	v_mul_u32_u24_e32 v1, 0x277, v0
	v_mov_b32_e32 v7, 0
	v_mov_b32_e32 v5, 0
	;; [unrolled: 1-line block ×3, first 2 shown]
	s_waitcnt lgkmcnt(0)
	s_load_dwordx2 s[20:21], s[16:17], 0x0
	s_load_dwordx2 s[2:3], s[18:19], 0x0
	v_cmp_lt_u64_e64 s0, s[14:15], 2
	v_add_nc_u32_sdwa v9, s6, v1 dst_sel:DWORD dst_unused:UNUSED_PAD src0_sel:DWORD src1_sel:WORD_1
	v_mov_b32_e32 v10, v7
	s_and_b32 vcc_lo, exec_lo, s0
	s_cbranch_vccnz .LBB0_8
; %bb.1:
	s_load_dwordx2 s[0:1], s[4:5], 0x10
	v_mov_b32_e32 v5, 0
	v_mov_b32_e32 v6, 0
	s_add_u32 s6, s18, 8
	s_addc_u32 s7, s19, 0
	v_mov_b32_e32 v1, v5
	s_add_u32 s22, s16, 8
	v_mov_b32_e32 v2, v6
	s_addc_u32 s23, s17, 0
	s_mov_b64 s[26:27], 1
	s_waitcnt lgkmcnt(0)
	s_add_u32 s24, s0, 8
	s_addc_u32 s25, s1, 0
.LBB0_2:                                ; =>This Inner Loop Header: Depth=1
	s_load_dwordx2 s[28:29], s[24:25], 0x0
                                        ; implicit-def: $vgpr3_vgpr4
	s_mov_b32 s0, exec_lo
	s_waitcnt lgkmcnt(0)
	v_or_b32_e32 v8, s29, v10
	v_cmpx_ne_u64_e32 0, v[7:8]
	s_xor_b32 s1, exec_lo, s0
	s_cbranch_execz .LBB0_4
; %bb.3:                                ;   in Loop: Header=BB0_2 Depth=1
	v_cvt_f32_u32_e32 v3, s28
	v_cvt_f32_u32_e32 v4, s29
	s_sub_u32 s0, 0, s28
	s_subb_u32 s30, 0, s29
	v_fmac_f32_e32 v3, 0x4f800000, v4
	v_rcp_f32_e32 v3, v3
	v_mul_f32_e32 v3, 0x5f7ffffc, v3
	v_mul_f32_e32 v4, 0x2f800000, v3
	v_trunc_f32_e32 v4, v4
	v_fmac_f32_e32 v3, 0xcf800000, v4
	v_cvt_u32_f32_e32 v4, v4
	v_cvt_u32_f32_e32 v3, v3
	v_mul_lo_u32 v8, s0, v4
	v_mul_hi_u32 v11, s0, v3
	v_mul_lo_u32 v12, s30, v3
	v_add_nc_u32_e32 v8, v11, v8
	v_mul_lo_u32 v11, s0, v3
	v_add_nc_u32_e32 v8, v8, v12
	v_mul_hi_u32 v12, v3, v11
	v_mul_lo_u32 v13, v3, v8
	v_mul_hi_u32 v14, v3, v8
	v_mul_hi_u32 v15, v4, v11
	v_mul_lo_u32 v11, v4, v11
	v_mul_hi_u32 v16, v4, v8
	v_mul_lo_u32 v8, v4, v8
	v_add_co_u32 v12, vcc_lo, v12, v13
	v_add_co_ci_u32_e32 v13, vcc_lo, 0, v14, vcc_lo
	v_add_co_u32 v11, vcc_lo, v12, v11
	v_add_co_ci_u32_e32 v11, vcc_lo, v13, v15, vcc_lo
	v_add_co_ci_u32_e32 v12, vcc_lo, 0, v16, vcc_lo
	v_add_co_u32 v8, vcc_lo, v11, v8
	v_add_co_ci_u32_e32 v11, vcc_lo, 0, v12, vcc_lo
	v_add_co_u32 v3, vcc_lo, v3, v8
	v_add_co_ci_u32_e32 v4, vcc_lo, v4, v11, vcc_lo
	v_mul_hi_u32 v8, s0, v3
	v_mul_lo_u32 v12, s30, v3
	v_mul_lo_u32 v11, s0, v4
	v_add_nc_u32_e32 v8, v8, v11
	v_mul_lo_u32 v11, s0, v3
	v_add_nc_u32_e32 v8, v8, v12
	v_mul_hi_u32 v12, v3, v11
	v_mul_lo_u32 v13, v3, v8
	v_mul_hi_u32 v14, v3, v8
	v_mul_hi_u32 v15, v4, v11
	v_mul_lo_u32 v11, v4, v11
	v_mul_hi_u32 v16, v4, v8
	v_mul_lo_u32 v8, v4, v8
	v_add_co_u32 v12, vcc_lo, v12, v13
	v_add_co_ci_u32_e32 v13, vcc_lo, 0, v14, vcc_lo
	v_add_co_u32 v11, vcc_lo, v12, v11
	v_add_co_ci_u32_e32 v11, vcc_lo, v13, v15, vcc_lo
	v_add_co_ci_u32_e32 v12, vcc_lo, 0, v16, vcc_lo
	v_add_co_u32 v8, vcc_lo, v11, v8
	v_add_co_ci_u32_e32 v11, vcc_lo, 0, v12, vcc_lo
	v_add_co_u32 v8, vcc_lo, v3, v8
	v_add_co_ci_u32_e32 v13, vcc_lo, v4, v11, vcc_lo
	v_mul_hi_u32 v15, v9, v8
	v_mad_u64_u32 v[11:12], null, v10, v8, 0
	v_mad_u64_u32 v[3:4], null, v9, v13, 0
	v_mad_u64_u32 v[13:14], null, v10, v13, 0
	v_add_co_u32 v3, vcc_lo, v15, v3
	v_add_co_ci_u32_e32 v4, vcc_lo, 0, v4, vcc_lo
	v_add_co_u32 v3, vcc_lo, v3, v11
	v_add_co_ci_u32_e32 v3, vcc_lo, v4, v12, vcc_lo
	v_add_co_ci_u32_e32 v4, vcc_lo, 0, v14, vcc_lo
	v_add_co_u32 v8, vcc_lo, v3, v13
	v_add_co_ci_u32_e32 v11, vcc_lo, 0, v4, vcc_lo
	v_mul_lo_u32 v12, s29, v8
	v_mad_u64_u32 v[3:4], null, s28, v8, 0
	v_mul_lo_u32 v13, s28, v11
	v_sub_co_u32 v3, vcc_lo, v9, v3
	v_add3_u32 v4, v4, v13, v12
	v_sub_nc_u32_e32 v12, v10, v4
	v_subrev_co_ci_u32_e64 v12, s0, s29, v12, vcc_lo
	v_add_co_u32 v13, s0, v8, 2
	v_add_co_ci_u32_e64 v14, s0, 0, v11, s0
	v_sub_co_u32 v15, s0, v3, s28
	v_sub_co_ci_u32_e32 v4, vcc_lo, v10, v4, vcc_lo
	v_subrev_co_ci_u32_e64 v12, s0, 0, v12, s0
	v_cmp_le_u32_e32 vcc_lo, s28, v15
	v_cmp_eq_u32_e64 s0, s29, v4
	v_cndmask_b32_e64 v15, 0, -1, vcc_lo
	v_cmp_le_u32_e32 vcc_lo, s29, v12
	v_cndmask_b32_e64 v16, 0, -1, vcc_lo
	v_cmp_le_u32_e32 vcc_lo, s28, v3
	;; [unrolled: 2-line block ×3, first 2 shown]
	v_cndmask_b32_e64 v17, 0, -1, vcc_lo
	v_cmp_eq_u32_e32 vcc_lo, s29, v12
	v_cndmask_b32_e64 v3, v17, v3, s0
	v_cndmask_b32_e32 v12, v16, v15, vcc_lo
	v_add_co_u32 v15, vcc_lo, v8, 1
	v_add_co_ci_u32_e32 v16, vcc_lo, 0, v11, vcc_lo
	v_cmp_ne_u32_e32 vcc_lo, 0, v12
	v_cndmask_b32_e32 v4, v16, v14, vcc_lo
	v_cndmask_b32_e32 v12, v15, v13, vcc_lo
	v_cmp_ne_u32_e32 vcc_lo, 0, v3
	v_cndmask_b32_e32 v4, v11, v4, vcc_lo
	v_cndmask_b32_e32 v3, v8, v12, vcc_lo
.LBB0_4:                                ;   in Loop: Header=BB0_2 Depth=1
	s_andn2_saveexec_b32 s0, s1
	s_cbranch_execz .LBB0_6
; %bb.5:                                ;   in Loop: Header=BB0_2 Depth=1
	v_cvt_f32_u32_e32 v3, s28
	s_sub_i32 s1, 0, s28
	v_rcp_iflag_f32_e32 v3, v3
	v_mul_f32_e32 v3, 0x4f7ffffe, v3
	v_cvt_u32_f32_e32 v3, v3
	v_mul_lo_u32 v4, s1, v3
	v_mul_hi_u32 v4, v3, v4
	v_add_nc_u32_e32 v3, v3, v4
	v_mul_hi_u32 v3, v9, v3
	v_mul_lo_u32 v4, v3, s28
	v_add_nc_u32_e32 v8, 1, v3
	v_sub_nc_u32_e32 v4, v9, v4
	v_subrev_nc_u32_e32 v11, s28, v4
	v_cmp_le_u32_e32 vcc_lo, s28, v4
	v_cndmask_b32_e32 v4, v4, v11, vcc_lo
	v_cndmask_b32_e32 v3, v3, v8, vcc_lo
	v_cmp_le_u32_e32 vcc_lo, s28, v4
	v_add_nc_u32_e32 v8, 1, v3
	v_mov_b32_e32 v4, v7
	v_cndmask_b32_e32 v3, v3, v8, vcc_lo
.LBB0_6:                                ;   in Loop: Header=BB0_2 Depth=1
	s_or_b32 exec_lo, exec_lo, s0
	v_mul_lo_u32 v8, v4, s28
	v_mul_lo_u32 v13, v3, s29
	s_load_dwordx2 s[0:1], s[22:23], 0x0
	v_mad_u64_u32 v[11:12], null, v3, s28, 0
	s_load_dwordx2 s[28:29], s[6:7], 0x0
	s_add_u32 s26, s26, 1
	s_addc_u32 s27, s27, 0
	s_add_u32 s6, s6, 8
	s_addc_u32 s7, s7, 0
	s_add_u32 s22, s22, 8
	v_add3_u32 v8, v12, v13, v8
	v_sub_co_u32 v9, vcc_lo, v9, v11
	s_addc_u32 s23, s23, 0
	s_add_u32 s24, s24, 8
	v_sub_co_ci_u32_e32 v8, vcc_lo, v10, v8, vcc_lo
	s_addc_u32 s25, s25, 0
	s_waitcnt lgkmcnt(0)
	v_mul_lo_u32 v10, s0, v8
	v_mul_lo_u32 v11, s1, v9
	v_mad_u64_u32 v[5:6], null, s0, v9, v[5:6]
	v_mul_lo_u32 v8, s28, v8
	v_mul_lo_u32 v12, s29, v9
	v_mad_u64_u32 v[1:2], null, s28, v9, v[1:2]
	v_cmp_ge_u64_e64 s0, s[26:27], s[14:15]
	v_add3_u32 v6, v11, v6, v10
	v_add3_u32 v2, v12, v2, v8
	s_and_b32 vcc_lo, exec_lo, s0
	s_cbranch_vccnz .LBB0_9
; %bb.7:                                ;   in Loop: Header=BB0_2 Depth=1
	v_mov_b32_e32 v10, v4
	v_mov_b32_e32 v9, v3
	s_branch .LBB0_2
.LBB0_8:
	v_mov_b32_e32 v1, v5
	v_mov_b32_e32 v3, v9
	;; [unrolled: 1-line block ×4, first 2 shown]
.LBB0_9:
	s_load_dwordx2 s[0:1], s[4:5], 0x28
	v_mul_hi_u32 v7, 0x2762763, v0
	s_lshl_b64 s[6:7], s[14:15], 3
	v_mov_b32_e32 v14, 0
	v_mov_b32_e32 v30, 0
	s_add_u32 s4, s18, s6
	s_addc_u32 s5, s19, s7
                                        ; implicit-def: $vgpr19
                                        ; implicit-def: $vgpr25
                                        ; implicit-def: $vgpr18
                                        ; implicit-def: $vgpr26
                                        ; implicit-def: $vgpr17
                                        ; implicit-def: $vgpr23
                                        ; implicit-def: $vgpr16
                                        ; implicit-def: $vgpr24
                                        ; implicit-def: $vgpr15
                                        ; implicit-def: $vgpr21
                                        ; implicit-def: $vgpr13
                                        ; implicit-def: $vgpr20
                                        ; implicit-def: $vgpr12
                                        ; implicit-def: $vgpr22
                                        ; implicit-def: $vgpr32
                                        ; implicit-def: $vgpr8
                                        ; implicit-def: $vgpr31
                                        ; implicit-def: $vgpr9
                                        ; implicit-def: $vgpr29
                                        ; implicit-def: $vgpr10
                                        ; implicit-def: $vgpr28
                                        ; implicit-def: $vgpr11
                                        ; implicit-def: $vgpr27
	v_mul_u32_u24_e32 v7, 0x68, v7
	v_sub_nc_u32_e32 v0, v0, v7
                                        ; implicit-def: $vgpr7
	s_waitcnt lgkmcnt(0)
	v_cmp_gt_u64_e32 vcc_lo, s[0:1], v[3:4]
	v_cmp_gt_u32_e64 s0, 56, v0
	s_and_b32 s1, vcc_lo, s0
	s_and_saveexec_b32 s14, s1
	s_cbranch_execz .LBB0_11
; %bb.10:
	s_add_u32 s6, s16, s6
	s_addc_u32 s7, s17, s7
	v_add_nc_u32_e32 v20, 56, v0
	s_load_dwordx2 s[6:7], s[6:7], 0x0
	v_add_nc_u32_e32 v22, 0x70, v0
	v_mad_u64_u32 v[7:8], null, s20, v0, 0
	v_mad_u64_u32 v[9:10], null, s20, v20, 0
	v_add_nc_u32_e32 v23, 0xa8, v0
	v_mad_u64_u32 v[11:12], null, s20, v22, 0
	v_add_nc_u32_e32 v24, 0xe0, v0
	v_lshlrev_b64 v[5:6], 2, v[5:6]
	v_mad_u64_u32 v[13:14], null, s20, v23, 0
	v_mad_u64_u32 v[17:18], null, s21, v0, v[8:9]
	v_mov_b32_e32 v8, v10
	v_mov_b32_e32 v10, v12
	v_mad_u64_u32 v[18:19], null, s20, v24, 0
	v_mov_b32_e32 v12, v14
	s_waitcnt lgkmcnt(0)
	v_mul_lo_u32 v21, s7, v3
	v_mul_lo_u32 v25, s6, v4
	v_mad_u64_u32 v[15:16], null, s6, v3, 0
	v_add_nc_u32_e32 v44, 0x2a0, v0
	v_mad_u64_u32 v[40:41], null, s20, v44, 0
	v_add3_u32 v16, v16, v25, v21
	v_mad_u64_u32 v[20:21], null, s21, v20, v[8:9]
	v_mad_u64_u32 v[21:22], null, s21, v22, v[10:11]
	v_lshlrev_b64 v[14:15], 2, v[15:16]
	v_mov_b32_e32 v8, v17
	v_mad_u64_u32 v[16:17], null, s21, v23, v[12:13]
	v_mov_b32_e32 v10, v20
	v_add_nc_u32_e32 v22, 0x118, v0
	v_add_co_u32 v14, s1, s8, v14
	v_add_co_ci_u32_e64 v15, s1, s9, v15, s1
	v_mov_b32_e32 v12, v21
	v_add_co_u32 v42, s1, v14, v5
	v_lshlrev_b64 v[7:8], 2, v[7:8]
	v_add_co_ci_u32_e64 v43, s1, v15, v6, s1
	v_lshlrev_b64 v[5:6], 2, v[9:10]
	v_lshlrev_b64 v[10:11], 2, v[11:12]
	v_mov_b32_e32 v9, v19
	v_add_co_u32 v7, s1, v42, v7
	v_mov_b32_e32 v14, v16
	v_add_co_ci_u32_e64 v8, s1, v43, v8, s1
	v_mad_u64_u32 v[15:16], null, s21, v24, v[9:10]
	v_add_co_u32 v5, s1, v42, v5
	v_mad_u64_u32 v[16:17], null, s20, v22, 0
	v_add_nc_u32_e32 v24, 0x150, v0
	v_add_co_ci_u32_e64 v6, s1, v43, v6, s1
	v_add_co_u32 v9, s1, v42, v10
	v_add_nc_u32_e32 v25, 0x188, v0
	v_add_co_ci_u32_e64 v10, s1, v43, v11, s1
	v_lshlrev_b64 v[11:12], 2, v[13:14]
	v_mov_b32_e32 v19, v15
	v_mad_u64_u32 v[14:15], null, s20, v24, 0
	v_mov_b32_e32 v13, v17
	v_mad_u64_u32 v[20:21], null, s20, v25, 0
	v_lshlrev_b64 v[18:19], 2, v[18:19]
	v_add_co_u32 v11, s1, v42, v11
	v_mad_u64_u32 v[22:23], null, s21, v22, v[13:14]
	v_mov_b32_e32 v13, v15
	v_mov_b32_e32 v15, v21
	v_add_co_ci_u32_e64 v12, s1, v43, v12, s1
	v_add_co_u32 v18, s1, v42, v18
	v_mov_b32_e32 v17, v22
	v_mad_u64_u32 v[21:22], null, s21, v24, v[13:14]
	v_mad_u64_u32 v[22:23], null, s21, v25, v[15:16]
	v_or_b32_e32 v23, 0x1c0, v0
	v_add_nc_u32_e32 v24, 0x1f8, v0
	v_lshlrev_b64 v[16:17], 2, v[16:17]
	v_add_nc_u32_e32 v25, 0x230, v0
	v_mov_b32_e32 v15, v21
	v_mad_u64_u32 v[27:28], null, s20, v23, 0
	v_mad_u64_u32 v[31:32], null, s20, v24, 0
	v_mov_b32_e32 v21, v22
	v_add_co_ci_u32_e64 v19, s1, v43, v19, s1
	v_add_co_u32 v16, s1, v42, v16
	v_lshlrev_b64 v[13:14], 2, v[14:15]
	v_mov_b32_e32 v15, v28
	v_mad_u64_u32 v[33:34], null, s20, v25, 0
	v_lshlrev_b64 v[20:21], 2, v[20:21]
	v_add_co_ci_u32_e64 v17, s1, v43, v17, s1
	v_mad_u64_u32 v[22:23], null, s21, v23, v[15:16]
	v_mov_b32_e32 v15, v32
	v_add_co_u32 v13, s1, v42, v13
	v_add_co_ci_u32_e64 v14, s1, v43, v14, s1
	v_add_co_u32 v35, s1, v42, v20
	v_mov_b32_e32 v20, v34
	v_mad_u64_u32 v[29:30], null, s21, v24, v[15:16]
	v_add_nc_u32_e32 v15, 0x268, v0
	v_mov_b32_e32 v28, v22
	v_mad_u64_u32 v[37:38], null, s21, v25, v[20:21]
	v_add_co_ci_u32_e64 v36, s1, v43, v21, s1
	v_mad_u64_u32 v[38:39], null, s20, v15, 0
	s_clause 0x7
	global_load_dword v30, v[7:8], off
	global_load_dword v25, v[5:6], off
	;; [unrolled: 1-line block ×8, first 2 shown]
	v_lshlrev_b64 v[6:7], 2, v[27:28]
	v_mov_b32_e32 v32, v29
	v_mov_b32_e32 v34, v37
	;; [unrolled: 1-line block ×3, first 2 shown]
	v_mad_u64_u32 v[8:9], null, s21, v15, v[5:6]
	v_mov_b32_e32 v5, v41
	v_add_co_u32 v6, s1, v42, v6
	v_lshlrev_b64 v[9:10], 2, v[31:32]
	v_add_co_ci_u32_e64 v7, s1, v43, v7, s1
	v_mad_u64_u32 v[11:12], null, s21, v44, v[5:6]
	v_lshlrev_b64 v[12:13], 2, v[33:34]
	v_mov_b32_e32 v39, v8
	v_add_co_u32 v8, s1, v42, v9
	v_add_co_ci_u32_e64 v9, s1, v43, v10, s1
	v_mov_b32_e32 v41, v11
	v_lshlrev_b64 v[14:15], 2, v[38:39]
	v_add_co_u32 v10, s1, v42, v12
	v_add_co_ci_u32_e64 v11, s1, v43, v13, s1
	v_lshlrev_b64 v[12:13], 2, v[40:41]
	v_add_co_u32 v14, s1, v42, v14
	v_add_co_ci_u32_e64 v15, s1, v43, v15, s1
	v_add_co_u32 v12, s1, v42, v12
	v_add_co_ci_u32_e64 v13, s1, v43, v13, s1
	s_clause 0x4
	global_load_dword v27, v[6:7], off
	global_load_dword v28, v[8:9], off
	;; [unrolled: 1-line block ×5, first 2 shown]
	s_waitcnt vmcnt(12)
	v_lshrrev_b32_e32 v14, 16, v30
	s_waitcnt vmcnt(11)
	v_lshrrev_b32_e32 v19, 16, v25
	s_waitcnt vmcnt(10)
	v_lshrrev_b32_e32 v18, 16, v26
	s_waitcnt vmcnt(9)
	v_lshrrev_b32_e32 v17, 16, v23
	s_waitcnt vmcnt(8)
	v_lshrrev_b32_e32 v16, 16, v24
	s_waitcnt vmcnt(7)
	v_lshrrev_b32_e32 v15, 16, v21
	s_waitcnt vmcnt(6)
	v_lshrrev_b32_e32 v13, 16, v20
	s_waitcnt vmcnt(5)
	v_lshrrev_b32_e32 v12, 16, v22
	s_waitcnt vmcnt(4)
	v_lshrrev_b32_e32 v11, 16, v27
	s_waitcnt vmcnt(3)
	v_lshrrev_b32_e32 v10, 16, v28
	s_waitcnt vmcnt(2)
	v_lshrrev_b32_e32 v9, 16, v29
	s_waitcnt vmcnt(1)
	v_lshrrev_b32_e32 v8, 16, v31
	s_waitcnt vmcnt(0)
	v_lshrrev_b32_e32 v7, 16, v32
.LBB0_11:
	s_or_b32 exec_lo, exec_lo, s14
	v_sub_f16_e32 v39, v19, v7
	v_add_f16_e32 v6, v25, v32
	v_sub_f16_e32 v35, v18, v8
	v_add_f16_e32 v33, v26, v31
	v_sub_f16_e32 v36, v17, v9
	v_mul_f16_e32 v48, 0xb3a8, v39
	v_add_f16_e32 v34, v23, v29
	v_mul_f16_e32 v49, 0x3770, v35
	v_sub_f16_e32 v38, v16, v10
	v_mul_f16_e32 v47, 0xb94e, v36
	v_fma_f16 v5, v6, 0xbbc4, -v48
	v_add_f16_e32 v37, v24, v28
	v_fma_f16 v40, v33, 0x3b15, -v49
	v_sub_f16_e32 v41, v15, v11
	v_mul_f16_e32 v46, 0x3a95, v38
	v_add_f16_e32 v5, v30, v5
	v_fma_f16 v42, v34, 0xb9fd, -v47
	v_sub_f16_e32 v43, v13, v12
	v_mul_f16_e32 v45, 0xbb7b, v41
	v_fma_f16 v44, v37, 0x388b, -v46
	v_add_f16_e32 v5, v5, v40
	v_add_f16_e32 v40, v21, v27
	;; [unrolled: 1-line block ×4, first 2 shown]
	v_fma_f16 v50, v40, 0xb5ac, -v45
	v_add_f16_e32 v5, v5, v44
	v_mul_f16_e32 v44, 0x3bf1, v43
	v_add_f16_e32 v5, v5, v50
	v_fma_f16 v50, v42, 0x2fb7, -v44
	v_add_f16_e32 v5, v50, v5
	s_and_saveexec_b32 s1, s0
	s_cbranch_execz .LBB0_13
; %bb.12:
	v_pk_mul_f16 v55, 0x388b3b15, v6 op_sel_hi:[1,0]
	v_pk_mul_f16 v61, 0xb5ac388b, v33 op_sel_hi:[1,0]
	;; [unrolled: 1-line block ×3, first 2 shown]
	v_mul_f16_e32 v50, 0xbbc4, v6
	v_mul_f16_e32 v56, 0xb9fd, v6
	v_fmamk_f16 v60, v39, 0x3770, v55
	v_pk_fma_f16 v55, 0xba95b770, v39, v55 op_sel_hi:[1,0,1]
	v_fmamk_f16 v64, v35, 0x3a95, v61
	v_pk_fma_f16 v61, 0xbb7bba95, v35, v61 op_sel_hi:[1,0,1]
	v_mul_f16_e32 v57, 0xb94e, v39
	v_add_f16_e32 v60, v30, v60
	v_pk_add_f16 v55, v30, v55 op_sel_hi:[0,1]
	v_pk_mul_f16 v67, 0xb9fdb5ac, v37 op_sel_hi:[1,0]
	v_mul_f16_e32 v51, 0x3b15, v33
	v_mul_f16_e32 v58, 0x2fb7, v33
	v_add_f16_e32 v60, v60, v64
	v_fmamk_f16 v64, v36, 0x3bf1, v65
	v_pk_add_f16 v55, v55, v61
	v_pk_fma_f16 v61, 0xb3a8bbf1, v36, v65 op_sel_hi:[1,0,1]
	v_mul_f16_e32 v59, 0x3bf1, v35
	v_pk_mul_f16 v65, 0x2fb7b9fd, v40 op_sel_hi:[1,0]
	v_add_f16_e32 v60, v60, v64
	v_fmamk_f16 v64, v38, 0x3b7b, v67
	v_add_f16_e32 v68, v30, v25
	v_pk_add_f16 v55, v55, v61
	v_pk_fma_f16 v61, 0x394ebb7b, v38, v67 op_sel_hi:[1,0,1]
	v_perm_b32 v48, v48, v57, 0x5040100
	v_perm_b32 v50, v50, v56, 0x5040100
	v_pk_mul_f16 v66, 0xb5ac2fb7, v6 op_sel_hi:[1,0]
	v_add_f16_e32 v60, v60, v64
	v_add_f16_e32 v64, v68, v26
	v_fmamk_f16 v68, v41, 0x394e, v65
	v_pk_add_f16 v55, v55, v61
	v_pk_fma_f16 v61, 0x3bf1b94e, v41, v65 op_sel_hi:[1,0,1]
	v_pk_mul_f16 v65, 0x3b15bbc4, v42 op_sel_hi:[1,0]
	v_perm_b32 v49, v49, v59, 0x5040100
	v_perm_b32 v51, v51, v58, 0x5040100
	v_pk_add_f16 v48, v48, v50
	v_mul_f16_e32 v52, 0xb9fd, v34
	v_mul_f16_e32 v62, 0x388b, v34
	;; [unrolled: 1-line block ×3, first 2 shown]
	v_pk_mul_f16 v67, 0xb9fdbbc4, v33 op_sel_hi:[1,0]
	v_pk_fma_f16 v69, 0xbb7bbbf1, v39, v66 op_sel_hi:[1,0,1]
	v_pk_add_f16 v55, v55, v61
	v_pk_fma_f16 v61, 0x3770b3a8, v43, v65 op_sel_hi:[1,0,1]
	v_pk_add_f16 v49, v49, v51
	v_pk_add_f16 v48, v30, v48 op_sel_hi:[0,1]
	v_mul_f16_e32 v53, 0x388b, v37
	v_add_f16_e32 v60, v60, v68
	v_pk_add_f16 v68, v30, v69 op_sel_hi:[0,1]
	v_pk_fma_f16 v69, 0x394eb3a8, v35, v67 op_sel_hi:[1,0,1]
	v_pk_add_f16 v55, v61, v55
	v_pk_mul_f16 v61, 0x3b15b5ac, v34 op_sel_hi:[1,0]
	v_mul_f16_e32 v50, 0xbbc4, v37
	v_perm_b32 v47, v47, v63, 0x5040100
	v_perm_b32 v52, v52, v62, 0x5040100
	v_pk_add_f16 v48, v48, v49
	v_mul_f16_e32 v49, 0x33a8, v38
	v_pk_add_f16 v68, v68, v69
	v_pk_fma_f16 v51, 0x37703b7b, v36, v61 op_sel_hi:[1,0,1]
	v_pk_mul_f16 v69, 0x2fb73b15, v37 op_sel_hi:[1,0]
	v_pk_add_f16 v47, v47, v52
	v_perm_b32 v46, v46, v49, 0x5040100
	v_perm_b32 v53, v53, v50, 0x5040100
	v_add_f16_e32 v64, v64, v23
	v_pk_add_f16 v51, v68, v51
	v_pk_fma_f16 v68, 0xbbf13770, v38, v69 op_sel_hi:[1,0,1]
	v_pk_mul_f16 v52, 0xbbc4388b, v40 op_sel_hi:[1,0]
	v_pk_add_f16 v47, v48, v47
	v_pk_add_f16 v46, v46, v53
	v_add_f16_e32 v64, v64, v24
	v_pk_add_f16 v51, v51, v68
	v_pk_fma_f16 v68, 0x33a8ba95, v41, v52 op_sel_hi:[1,0,1]
	v_bfi_b32 v56, 0xffff, v56, v66
	v_pk_add_f16 v46, v47, v46
	v_pk_mul_f16 v47, 0x388bb9fd, v42 op_sel_hi:[1,0]
	v_add_f16_e32 v64, v64, v21
	v_pk_add_f16 v51, v51, v68
	v_pk_mul_f16 v68, 0xbb7bbbf1, v39 op_sel_hi:[1,0]
	v_mul_f16_e32 v54, 0xb5ac, v40
	v_pk_fma_f16 v66, 0x3a95b94e, v43, v47 op_sel_hi:[1,0,1]
	v_add_f16_e32 v64, v64, v20
	v_mul_f16_e32 v48, 0x3b15, v40
	v_mul_f16_e32 v53, 0x3770, v41
	v_bfi_b32 v57, 0xffff, v57, v68
	v_pk_add_f16 v51, v66, v51
	v_pk_mul_f16 v66, 0x394eb3a8, v35 op_sel_hi:[1,0]
	v_pk_mul_f16 v39, 0x3a953bf1, v39 op_sel_hi:[1,0]
	v_add_f16_e32 v64, v64, v22
	v_perm_b32 v45, v45, v53, 0x5040100
	v_perm_b32 v54, v54, v48, 0x5040100
	v_pk_add_f16 v56, v56, v57 neg_lo:[0,1] neg_hi:[0,1]
	v_bfi_b32 v58, 0xffff, v58, v67
	v_pk_mul_f16 v67, 0x37703b7b, v36 op_sel_hi:[1,0]
	v_bfi_b32 v59, 0xffff, v59, v66
	v_pk_fma_f16 v6, 0x388b2fb7, v6, v39 op_sel_hi:[1,0,1]
	v_pk_mul_f16 v35, 0x3b7b33a8, v35 op_sel_hi:[1,0]
	v_add_f16_e32 v64, v64, v27
	v_pk_add_f16 v45, v45, v54
	v_pk_mul_f16 v66, 0xbbf13770, v38 op_sel_hi:[1,0]
	v_pk_add_f16 v58, v58, v59 neg_lo:[0,1] neg_hi:[0,1]
	v_pk_add_f16 v56, v30, v56 op_sel_hi:[0,1]
	v_bfi_b32 v61, 0xffff, v62, v61
	v_bfi_b32 v63, 0xffff, v63, v67
	v_pk_add_f16 v6, v30, v6 op_sel_hi:[0,1]
	v_pk_fma_f16 v30, 0xb5acbbc4, v33, v35 op_sel_hi:[1,0,1]
	v_pk_mul_f16 v33, 0x33a8bb7b, v36 op_sel_hi:[1,0]
	v_mul_f16_e32 v68, 0x2fb7, v42
	v_mul_f16_e32 v54, 0xb5ac, v42
	v_add_f16_e32 v64, v28, v64
	v_mul_f16_e32 v57, 0xbb7b, v43
	v_pk_add_f16 v45, v46, v45
	v_pk_mul_f16 v46, 0x33a8ba95, v41 op_sel_hi:[1,0]
	v_pk_add_f16 v56, v56, v58
	v_pk_add_f16 v39, v61, v63 neg_lo:[0,1] neg_hi:[0,1]
	v_bfi_b32 v50, 0xffff, v50, v69
	v_bfi_b32 v49, 0xffff, v49, v66
	v_pk_add_f16 v6, v6, v30
	v_pk_fma_f16 v30, 0xbbc4b5ac, v34, v33 op_sel_hi:[1,0,1]
	v_pk_mul_f16 v33, 0xb94eb770, v38 op_sel_hi:[1,0]
	v_add_f16_e32 v64, v29, v64
	v_perm_b32 v44, v44, v57, 0x5040100
	v_perm_b32 v68, v68, v54, 0x5040100
	v_pk_mul_f16 v59, 0x3a95b94e, v43 op_sel_hi:[1,0]
	v_pk_add_f16 v36, v56, v39
	v_pk_add_f16 v39, v50, v49 neg_lo:[0,1] neg_hi:[0,1]
	v_bfi_b32 v34, 0xffff, v48, v52
	v_bfi_b32 v38, 0xffff, v53, v46
	v_pk_add_f16 v6, v6, v30
	v_pk_fma_f16 v30, 0xb9fd3b15, v37, v33 op_sel_hi:[1,0,1]
	v_pk_mul_f16 v33, 0xbbf13a95, v41 op_sel_hi:[1,0]
	v_add_f16_e32 v64, v31, v64
	v_pk_add_f16 v44, v44, v68
	v_pk_add_f16 v39, v36, v39
	v_pk_add_f16 v34, v34, v38 neg_lo:[0,1] neg_hi:[0,1]
	v_bfi_b32 v37, 0xffff, v54, v47
	v_bfi_b32 v38, 0xffff, v57, v59
	v_pk_add_f16 v6, v6, v30
	v_pk_fma_f16 v30, 0x2fb7388b, v40, v33 op_sel_hi:[1,0,1]
	v_pk_mul_f16 v33, 0xb770394e, v43 op_sel_hi:[1,0]
	v_add_f16_e32 v64, v32, v64
	v_pk_add_f16 v35, v44, v45
	v_pk_add_f16 v39, v39, v34
	v_pk_add_f16 v37, v37, v38 neg_lo:[0,1] neg_hi:[0,1]
	v_pk_add_f16 v6, v6, v30
	v_pk_fma_f16 v30, 0x3b15b9fd, v42, v33 op_sel_hi:[1,0,1]
	v_fmamk_f16 v65, v43, 0x33a8, v65
	v_mad_u32_u24 v62, v0, 26, 0
	v_alignbit_b32 v36, v5, v35, 16
	v_alignbit_b32 v34, v51, v55, 16
	;; [unrolled: 1-line block ×3, first 2 shown]
	v_pack_b32_f16 v33, v64, v55
	v_pk_add_f16 v37, v37, v39
	v_pk_add_f16 v38, v30, v6
	v_add_f16_e32 v6, v65, v60
	ds_write_b128 v62, v[33:36]
	ds_write_b64 v62, v[37:38] offset:16
	ds_write_b16 v62, v6 offset:24
.LBB0_13:
	s_or_b32 exec_lo, exec_lo, s1
	v_sub_f16_e32 v39, v25, v32
	v_add_f16_e32 v34, v19, v7
	v_sub_f16_e32 v38, v26, v31
	v_add_f16_e32 v35, v18, v8
	v_sub_f16_e32 v42, v23, v29
	v_pk_mul_f16 v30, 0xb3a8b94e, v39 op_sel_hi:[1,0]
	v_sub_f16_e32 v41, v24, v28
	v_pk_mul_f16 v28, 0x37703bf1, v38 op_sel_hi:[1,0]
	v_add_f16_e32 v36, v17, v9
	v_sub_f16_e32 v43, v21, v27
	v_pk_fma_f16 v6, 0xbbc4b9fd, v34, v30 op_sel_hi:[1,0,1]
	v_pk_mul_f16 v29, 0xb94eba95, v42 op_sel_hi:[1,0]
	v_pk_fma_f16 v21, 0x3b152fb7, v35, v28 op_sel_hi:[1,0,1]
	v_sub_f16_e32 v44, v20, v22
	v_add_f16_e32 v37, v16, v10
	v_pk_add_f16 v6, v14, v6 op_sel_hi:[0,1]
	v_pk_fma_f16 v20, 0xb9fd388b, v36, v29 op_sel_hi:[1,0,1]
	s_waitcnt lgkmcnt(0)
	v_pk_mul_f16 v31, 0x3a9533a8, v41 op_sel_hi:[1,0]
	s_barrier
	v_pk_add_f16 v21, v6, v21
	v_lshl_add_u32 v6, v0, 1, 0
	buffer_gl0_inv
	v_add_f16_e32 v40, v15, v11
	v_pk_mul_f16 v32, 0xbb7b3770, v43 op_sel_hi:[1,0]
	v_pk_add_f16 v20, v21, v20
	ds_read_u16 v21, v6
	ds_read_u16 v27, v6 offset:208
	ds_read_u16 v26, v6 offset:416
	;; [unrolled: 1-line block ×6, first 2 shown]
	v_pk_fma_f16 v33, 0x388bbbc4, v37, v31 op_sel_hi:[1,0,1]
	v_add_f16_e32 v45, v13, v12
	v_pk_fma_f16 v46, 0xb5ac3b15, v40, v32 op_sel_hi:[1,0,1]
	s_waitcnt lgkmcnt(0)
	s_barrier
	v_pk_add_f16 v20, v20, v33
	v_pk_mul_f16 v33, 0x3bf1bb7b, v44 op_sel_hi:[1,0]
	buffer_gl0_inv
	v_pk_add_f16 v20, v20, v46
	v_pk_fma_f16 v46, 0x2fb7b5ac, v45, v33 op_sel_hi:[1,0,1]
	v_pk_add_f16 v20, v46, v20
	s_and_saveexec_b32 s1, s0
	s_cbranch_execz .LBB0_15
; %bb.14:
	v_add_f16_e32 v19, v14, v19
	v_pack_b32_f16 v39, v39, v39
	v_pack_b32_f16 v46, v34, v34
	v_perm_b32 v14, v14, v14, 0x5040100
	v_pack_b32_f16 v47, v35, v35
	v_add_f16_e32 v18, v19, v18
	v_pack_b32_f16 v19, v38, v38
	v_pack_b32_f16 v42, v42, v42
	;; [unrolled: 1-line block ×4, first 2 shown]
	v_add_f16_e32 v17, v18, v17
	v_pack_b32_f16 v18, v41, v41
	v_pack_b32_f16 v41, v40, v40
	v_pack_b32_f16 v49, v45, v45
	v_pack_b32_f16 v43, v43, v43
	v_add_f16_e32 v16, v17, v16
	v_pack_b32_f16 v17, v44, v44
	v_pk_mul_f16 v44, 0xba95b770, v39
	v_pk_mul_f16 v50, 0x394ebb7b, v18
	;; [unrolled: 1-line block ×3, first 2 shown]
	v_add_f16_e32 v15, v16, v15
	v_pk_mul_f16 v16, 0x388bbbc4, v37 op_sel_hi:[1,0]
	v_pk_fma_f16 v52, 0x388b3b15, v46, v44 neg_lo:[0,0,1] neg_hi:[0,0,1]
	v_pk_fma_f16 v44, 0x388b3b15, v46, v44
	v_pk_mul_f16 v37, 0xb5ac3b15, v40 op_sel_hi:[1,0]
	v_add_f16_e32 v13, v15, v13
	v_pk_mul_f16 v15, 0xbb7bba95, v19
	v_pk_mul_f16 v40, 0x2fb7b5ac, v45 op_sel_hi:[1,0]
	v_pk_mul_f16 v45, 0xb3a8bbf1, v42
	v_pk_add_f16 v52, v14, v52
	v_add_f16_e32 v12, v13, v12
	v_pk_add_f16 v44, v14, v44
	v_pk_mul_f16 v51, 0x3bf1b94e, v43
	v_pk_mul_f16 v34, 0xbbc4b9fd, v34 op_sel_hi:[1,0]
	v_pk_mul_f16 v35, 0x3b152fb7, v35 op_sel_hi:[1,0]
	v_add_f16_e32 v11, v12, v11
	v_pk_fma_f16 v12, 0xb5ac388b, v47, v15 neg_lo:[0,0,1] neg_hi:[0,0,1]
	v_pk_fma_f16 v15, 0xb5ac388b, v47, v15
	v_pk_mul_f16 v36, 0xb9fd388b, v36 op_sel_hi:[1,0]
	v_pk_mul_f16 v18, 0xbbf13770, v18
	v_add_f16_e32 v10, v10, v11
	v_pk_fma_f16 v11, 0xbbc42fb7, v38, v45 neg_lo:[0,0,1] neg_hi:[0,0,1]
	v_pk_fma_f16 v45, 0xbbc42fb7, v38, v45
	v_pk_add_f16 v12, v52, v12
	v_pk_add_f16 v15, v44, v15
	v_add_f16_e32 v9, v9, v10
	v_pk_fma_f16 v10, 0xb9fdb5ac, v48, v50 neg_lo:[0,0,1] neg_hi:[0,0,1]
	v_pk_fma_f16 v44, 0xb9fdb5ac, v48, v50
	v_pk_add_f16 v11, v12, v11
	v_pk_add_f16 v12, v15, v45
	v_add_f16_e32 v8, v8, v9
	v_pk_fma_f16 v15, 0xb5ac2fb7, v46, v39 neg_lo:[0,0,1] neg_hi:[0,0,1]
	v_pk_mul_f16 v13, 0x3770b3a8, v17
	v_pk_add_f16 v10, v11, v10
	v_pk_add_f16 v11, v12, v44
	v_add_f16_e32 v44, v7, v8
	v_pk_mul_f16 v7, 0x394eb3a8, v19
	v_pk_add_f16 v12, v14, v15
	v_pk_fma_f16 v8, 0x2fb7b9fd, v41, v51
	v_pk_fma_f16 v19, 0xb5ac2fb7, v46, v39
	v_pk_fma_f16 v9, 0x2fb7b9fd, v41, v51 neg_lo:[0,0,1] neg_hi:[0,0,1]
	v_pk_fma_f16 v15, 0xb9fdbbc4, v47, v7 neg_lo:[0,0,1] neg_hi:[0,0,1]
	v_pk_fma_f16 v7, 0xb9fdbbc4, v47, v7
	v_pk_add_f16 v8, v11, v8
	v_pk_mul_f16 v11, 0x37703b7b, v42
	v_pk_add_f16 v19, v14, v19
	v_pk_add_f16 v12, v12, v15
	v_pk_add_f16 v15, v34, v30 neg_lo:[0,1] neg_hi:[0,1]
	v_pk_mul_f16 v17, 0x3a95b94e, v17
	v_pk_fma_f16 v30, 0x3b15b5ac, v38, v11 neg_lo:[0,0,1] neg_hi:[0,0,1]
	v_pk_add_f16 v7, v19, v7
	v_pk_fma_f16 v11, 0x3b15b5ac, v38, v11
	v_pk_add_f16 v14, v14, v15
	v_pk_add_f16 v15, v35, v28 neg_lo:[0,1] neg_hi:[0,1]
	v_pk_add_f16 v12, v12, v30
	v_pk_fma_f16 v28, 0x2fb73b15, v48, v18 neg_lo:[0,0,1] neg_hi:[0,0,1]
	v_pk_mul_f16 v19, 0x33a8ba95, v43
	v_pk_add_f16 v7, v7, v11
	v_pk_add_f16 v14, v14, v15
	v_pk_add_f16 v15, v36, v29 neg_lo:[0,1] neg_hi:[0,1]
	v_pk_fma_f16 v11, 0x2fb73b15, v48, v18
	v_pk_add_f16 v12, v12, v28
	v_pk_add_f16 v9, v10, v9
	v_pk_fma_f16 v10, 0x3b15bbc4, v49, v13 neg_lo:[0,0,1] neg_hi:[0,0,1]
	v_pk_add_f16 v14, v14, v15
	v_pk_add_f16 v15, v16, v31 neg_lo:[0,1] neg_hi:[0,1]
	v_pk_fma_f16 v16, 0xbbc4388b, v41, v19 neg_lo:[0,0,1] neg_hi:[0,0,1]
	v_pk_add_f16 v7, v7, v11
	v_pk_fma_f16 v11, 0xbbc4388b, v41, v19
	v_pk_fma_f16 v13, 0x3b15bbc4, v49, v13
	v_pk_add_f16 v14, v14, v15
	v_pk_add_f16 v15, v37, v32 neg_lo:[0,1] neg_hi:[0,1]
	v_pk_add_f16 v12, v12, v16
	v_pk_fma_f16 v16, 0x388bb9fd, v49, v17 neg_lo:[0,0,1] neg_hi:[0,0,1]
	v_pk_add_f16 v11, v7, v11
	v_pk_fma_f16 v17, 0x388bb9fd, v49, v17
	v_pk_add_f16 v14, v14, v15
	v_pk_add_f16 v15, v40, v33 neg_lo:[0,1] neg_hi:[0,1]
	v_pk_add_f16 v13, v13, v8
	v_pk_add_f16 v7, v10, v9
	;; [unrolled: 1-line block ×5, first 2 shown]
	v_mad_u32_u24 v14, v0, 24, v6
	v_alignbit_b32 v10, v20, v20, 16
	v_alignbit_b32 v11, v11, v11, 16
	;; [unrolled: 1-line block ×3, first 2 shown]
	ds_write_b16 v14, v44
	ds_write_b128 v14, v[7:10] offset:2
	ds_write_b64 v14, v[11:12] offset:18
.LBB0_15:
	s_or_b32 exec_lo, exec_lo, s1
	v_and_b32_e32 v7, 0xff, v0
	v_mov_b32_e32 v8, 6
	s_load_dwordx2 s[4:5], s[4:5], 0x0
	s_waitcnt lgkmcnt(0)
	s_barrier
	v_mul_lo_u16 v7, 0x4f, v7
	buffer_gl0_inv
	v_mov_b32_e32 v15, 0xb6
	v_mov_b32_e32 v16, 1
	v_cmp_gt_u32_e64 s0, 0x5b, v0
	v_lshrrev_b16 v13, 10, v7
	v_mul_lo_u16 v7, v13, 13
	v_mul_u32_u24_sdwa v13, v13, v15 dst_sel:DWORD dst_unused:UNUSED_PAD src0_sel:WORD_0 src1_sel:DWORD
	v_sub_nc_u16 v14, v0, v7
	v_mul_u32_u24_sdwa v7, v14, v8 dst_sel:DWORD dst_unused:UNUSED_PAD src0_sel:BYTE_0 src1_sel:DWORD
	v_lshlrev_b32_sdwa v15, v16, v14 dst_sel:DWORD dst_unused:UNUSED_PAD src0_sel:DWORD src1_sel:BYTE_0
	v_lshlrev_b32_e32 v11, 2, v7
	v_add3_u32 v28, 0, v13, v15
	s_clause 0x1
	global_load_dwordx4 v[7:10], v11, s[12:13]
	global_load_dwordx2 v[11:12], v11, s[12:13] offset:16
	ds_read_u16 v30, v6 offset:208
	ds_read_u16 v31, v6 offset:416
	;; [unrolled: 1-line block ×6, first 2 shown]
	ds_read_u16 v14, v6
	s_waitcnt vmcnt(0) lgkmcnt(0)
	s_barrier
	buffer_gl0_inv
	v_mul_f16_sdwa v16, v30, v7 dst_sel:DWORD dst_unused:UNUSED_PAD src0_sel:DWORD src1_sel:WORD_1
	v_mul_f16_sdwa v15, v31, v8 dst_sel:DWORD dst_unused:UNUSED_PAD src0_sel:DWORD src1_sel:WORD_1
	;; [unrolled: 1-line block ×12, first 2 shown]
	v_fmac_f16_e32 v16, v27, v7
	v_fmac_f16_e32 v15, v26, v8
	v_fmac_f16_e32 v29, v25, v12
	v_fmac_f16_e32 v19, v22, v11
	v_fma_f16 v27, v30, v7, -v13
	v_fma_f16 v26, v31, v8, -v36
	v_fmac_f16_e32 v17, v24, v9
	v_fma_f16 v24, v32, v9, -v37
	v_fmac_f16_e32 v18, v23, v10
	v_fma_f16 v25, v35, v12, -v40
	v_fma_f16 v22, v33, v10, -v38
	;; [unrolled: 1-line block ×3, first 2 shown]
	v_add_f16_e32 v7, v16, v29
	v_add_f16_e32 v8, v15, v19
	v_sub_f16_e32 v9, v27, v25
	v_add_f16_e32 v10, v17, v18
	v_sub_f16_e32 v11, v26, v23
	v_sub_f16_e32 v12, v22, v24
	v_add_f16_e32 v13, v8, v7
	v_sub_f16_e32 v30, v8, v7
	v_sub_f16_e32 v7, v7, v10
	;; [unrolled: 1-line block ×3, first 2 shown]
	v_add_f16_e32 v31, v12, v11
	v_sub_f16_e32 v32, v12, v11
	v_sub_f16_e32 v11, v11, v9
	v_add_f16_e32 v10, v10, v13
	v_sub_f16_e32 v12, v9, v12
	v_add_f16_e32 v9, v31, v9
	v_mul_f16_e32 v13, 0x3a52, v7
	v_mul_f16_e32 v31, 0x2b26, v8
	v_mul_f16_e32 v32, 0x3846, v32
	v_mul_f16_e32 v33, 0xbb00, v11
	v_add_f16_e32 v7, v21, v10
	v_fmamk_f16 v8, v8, 0x2b26, v13
	v_fma_f16 v21, v30, 0x39e0, -v31
	v_fmamk_f16 v31, v12, 0xb574, v32
	v_fma_f16 v32, v11, 0xbb00, -v32
	v_fma_f16 v12, v12, 0x3574, -v33
	v_fmamk_f16 v10, v10, 0xbcab, v7
	v_fma_f16 v11, v30, 0xb9e0, -v13
	v_fmac_f16_e32 v31, 0xb70e, v9
	v_fmac_f16_e32 v32, 0xb70e, v9
	;; [unrolled: 1-line block ×3, first 2 shown]
	v_add_f16_e32 v30, v8, v10
	v_add_f16_e32 v33, v11, v10
	;; [unrolled: 1-line block ×3, first 2 shown]
	ds_write_b16 v28, v7
	v_add_f16_e32 v9, v31, v30
	v_add_f16_e32 v8, v12, v33
	v_sub_f16_e32 v11, v10, v32
	v_add_f16_e32 v13, v32, v10
	v_sub_f16_e32 v12, v33, v12
	v_sub_f16_e32 v10, v30, v31
	ds_write_b16 v28, v9 offset:26
	ds_write_b16 v28, v8 offset:52
	ds_write_b16 v28, v11 offset:78
	ds_write_b16 v28, v13 offset:104
	ds_write_b16 v28, v12 offset:130
	ds_write_b16 v28, v10 offset:156
	s_waitcnt lgkmcnt(0)
	s_barrier
	buffer_gl0_inv
	s_and_saveexec_b32 s1, s0
	s_cbranch_execz .LBB0_17
; %bb.16:
	ds_read_u16 v7, v6
	ds_read_u16 v9, v6 offset:182
	ds_read_u16 v8, v6 offset:364
	;; [unrolled: 1-line block ×7, first 2 shown]
.LBB0_17:
	s_or_b32 exec_lo, exec_lo, s1
	v_add_f16_e32 v21, v27, v25
	v_add_f16_e32 v23, v26, v23
	v_sub_f16_e32 v16, v16, v29
	v_add_f16_e32 v22, v24, v22
	v_sub_f16_e32 v15, v15, v19
	v_sub_f16_e32 v17, v18, v17
	v_add_f16_e32 v18, v23, v21
	v_sub_f16_e32 v19, v23, v21
	v_sub_f16_e32 v21, v21, v22
	;; [unrolled: 1-line block ×3, first 2 shown]
	v_add_f16_e32 v24, v17, v15
	v_add_f16_e32 v18, v22, v18
	v_sub_f16_e32 v22, v17, v15
	v_sub_f16_e32 v15, v15, v16
	;; [unrolled: 1-line block ×3, first 2 shown]
	v_add_f16_e32 v16, v24, v16
	v_add_f16_e32 v14, v14, v18
	v_mul_f16_e32 v21, 0x3a52, v21
	v_mul_f16_e32 v24, 0x2b26, v23
	;; [unrolled: 1-line block ×4, first 2 shown]
	v_fmamk_f16 v18, v18, 0xbcab, v14
	v_fmamk_f16 v23, v23, 0x2b26, v21
	v_fma_f16 v24, v19, 0x39e0, -v24
	v_fma_f16 v19, v19, 0xb9e0, -v21
	v_fmamk_f16 v21, v17, 0xb574, v22
	v_fma_f16 v15, v15, 0xbb00, -v22
	v_fma_f16 v22, v17, 0x3574, -v25
	v_add_f16_e32 v23, v23, v18
	v_add_f16_e32 v24, v24, v18
	;; [unrolled: 1-line block ×3, first 2 shown]
	v_fmac_f16_e32 v21, 0xb70e, v16
	v_fmac_f16_e32 v22, 0xb70e, v16
	v_fmac_f16_e32 v15, 0xb70e, v16
	v_lshrrev_b32_e32 v20, 16, v20
	s_waitcnt lgkmcnt(0)
	v_sub_f16_e32 v17, v23, v21
	v_sub_f16_e32 v18, v19, v22
	v_add_f16_e32 v16, v15, v24
	v_sub_f16_e32 v15, v24, v15
	v_add_f16_e32 v19, v22, v19
	v_add_f16_e32 v21, v21, v23
	s_barrier
	buffer_gl0_inv
	ds_write_b16 v28, v14
	ds_write_b16 v28, v17 offset:26
	ds_write_b16 v28, v18 offset:52
	;; [unrolled: 1-line block ×6, first 2 shown]
	s_waitcnt lgkmcnt(0)
	s_barrier
	buffer_gl0_inv
	s_and_saveexec_b32 s1, s0
	s_cbranch_execnz .LBB0_20
; %bb.18:
	s_or_b32 exec_lo, exec_lo, s1
	s_and_b32 s0, vcc_lo, s0
	s_and_saveexec_b32 s1, s0
	s_cbranch_execnz .LBB0_21
.LBB0_19:
	s_endpgm
.LBB0_20:
	ds_read_u16 v14, v6
	ds_read_u16 v17, v6 offset:182
	ds_read_u16 v18, v6 offset:364
	;; [unrolled: 1-line block ×7, first 2 shown]
	s_or_b32 exec_lo, exec_lo, s1
	s_and_b32 s0, vcc_lo, s0
	s_and_saveexec_b32 s1, s0
	s_cbranch_execz .LBB0_19
.LBB0_21:
	v_mul_u32_u24_e32 v6, 7, v0
	v_mad_u64_u32 v[29:30], null, s2, v0, 0
	v_add_nc_u32_e32 v47, 0x5b, v0
	v_add_nc_u32_e32 v48, 0xb6, v0
	v_lshlrev_b32_e32 v6, 2, v6
	v_mul_lo_u32 v43, s5, v3
	v_mul_lo_u32 v44, s4, v4
	v_mad_u64_u32 v[3:4], null, s4, v3, 0
	s_clause 0x1
	global_load_dwordx4 v[22:25], v6, s[12:13] offset:312
	global_load_dwordx3 v[26:28], v6, s[12:13] offset:328
	v_add_nc_u32_e32 v49, 0x111, v0
	v_mad_u64_u32 v[31:32], null, s2, v47, 0
	v_add_nc_u32_e32 v50, 0x16c, v0
	v_mad_u64_u32 v[33:34], null, s2, v48, 0
	v_mov_b32_e32 v6, v30
	v_add_nc_u32_e32 v51, 0x1c7, v0
	v_add_nc_u32_e32 v52, 0x222, v0
	v_mad_u64_u32 v[35:36], null, s2, v49, 0
	v_add_nc_u32_e32 v53, 0x27d, v0
	v_lshlrev_b64 v[1:2], 2, v[1:2]
	v_add3_u32 v4, v4, v44, v43
	v_mad_u64_u32 v[37:38], null, s2, v50, 0
	v_mad_u64_u32 v[45:46], null, s3, v0, v[6:7]
	v_mov_b32_e32 v0, v32
	v_mad_u64_u32 v[39:40], null, s2, v51, 0
	v_mad_u64_u32 v[41:42], null, s2, v52, 0
	;; [unrolled: 1-line block ×3, first 2 shown]
	v_mov_b32_e32 v6, v34
	v_lshlrev_b64 v[3:4], 2, v[3:4]
	v_mov_b32_e32 v30, v36
	v_mad_u64_u32 v[46:47], null, s3, v47, v[0:1]
	v_mov_b32_e32 v32, v38
	v_mad_u64_u32 v[47:48], null, s3, v48, v[6:7]
	v_mov_b32_e32 v34, v40
	v_mov_b32_e32 v36, v42
	v_mad_u64_u32 v[48:49], null, s3, v49, v[30:31]
	v_add_co_u32 v0, vcc_lo, s10, v3
	v_mov_b32_e32 v30, v45
	v_mov_b32_e32 v38, v44
	v_mad_u64_u32 v[49:50], null, s3, v50, v[32:33]
	v_add_co_ci_u32_e32 v3, vcc_lo, s11, v4, vcc_lo
	v_mov_b32_e32 v32, v46
	v_mad_u64_u32 v[50:51], null, s3, v51, v[34:35]
	v_mad_u64_u32 v[51:52], null, s3, v52, v[36:37]
	v_add_co_u32 v4, vcc_lo, v0, v1
	v_lshlrev_b64 v[0:1], 2, v[29:30]
	v_mad_u64_u32 v[52:53], null, s3, v53, v[38:39]
	v_mov_b32_e32 v34, v47
	v_add_co_ci_u32_e32 v6, vcc_lo, v3, v2, vcc_lo
	v_lshlrev_b64 v[2:3], 2, v[31:32]
	v_mov_b32_e32 v36, v48
	v_lshlrev_b64 v[29:30], 2, v[33:34]
	v_add_co_u32 v0, vcc_lo, v4, v0
	v_mov_b32_e32 v38, v49
	v_add_co_ci_u32_e32 v1, vcc_lo, v6, v1, vcc_lo
	v_mov_b32_e32 v40, v50
	v_mov_b32_e32 v42, v51
	;; [unrolled: 1-line block ×3, first 2 shown]
	v_lshlrev_b64 v[31:32], 2, v[35:36]
	v_add_co_u32 v2, vcc_lo, v4, v2
	v_add_co_ci_u32_e32 v3, vcc_lo, v6, v3, vcc_lo
	v_lshlrev_b64 v[33:34], 2, v[37:38]
	v_add_co_u32 v29, vcc_lo, v4, v29
	v_lshlrev_b64 v[35:36], 2, v[39:40]
	v_lshlrev_b64 v[37:38], 2, v[41:42]
	;; [unrolled: 1-line block ×3, first 2 shown]
	v_add_co_ci_u32_e32 v30, vcc_lo, v6, v30, vcc_lo
	v_add_co_u32 v31, vcc_lo, v4, v31
	v_add_co_ci_u32_e32 v32, vcc_lo, v6, v32, vcc_lo
	v_add_co_u32 v33, vcc_lo, v4, v33
	;; [unrolled: 2-line block ×5, first 2 shown]
	s_waitcnt vmcnt(1) lgkmcnt(3)
	v_mul_f16_sdwa v41, v15, v25 dst_sel:DWORD dst_unused:UNUSED_PAD src0_sel:DWORD src1_sel:WORD_1
	v_mul_f16_sdwa v42, v8, v23 dst_sel:DWORD dst_unused:UNUSED_PAD src0_sel:DWORD src1_sel:WORD_1
	s_waitcnt vmcnt(0)
	v_mul_f16_sdwa v43, v10, v27 dst_sel:DWORD dst_unused:UNUSED_PAD src0_sel:DWORD src1_sel:WORD_1
	v_mul_f16_sdwa v44, v9, v22 dst_sel:DWORD dst_unused:UNUSED_PAD src0_sel:DWORD src1_sel:WORD_1
	;; [unrolled: 1-line block ×4, first 2 shown]
	s_waitcnt lgkmcnt(0)
	v_mul_f16_sdwa v47, v20, v28 dst_sel:DWORD dst_unused:UNUSED_PAD src0_sel:DWORD src1_sel:WORD_1
	v_mul_f16_sdwa v48, v17, v22 dst_sel:DWORD dst_unused:UNUSED_PAD src0_sel:DWORD src1_sel:WORD_1
	;; [unrolled: 1-line block ×8, first 2 shown]
	v_fmac_f16_e32 v41, v13, v25
	v_fma_f16 v13, v18, v23, -v42
	v_fma_f16 v18, v21, v27, -v43
	;; [unrolled: 1-line block ×4, first 2 shown]
	v_fmac_f16_e32 v46, v11, v24
	v_fmac_f16_e32 v47, v5, v28
	;; [unrolled: 1-line block ×4, first 2 shown]
	v_fma_f16 v9, v16, v24, -v50
	v_fma_f16 v5, v20, v28, -v51
	;; [unrolled: 1-line block ×3, first 2 shown]
	v_fmac_f16_e32 v53, v8, v23
	v_fmac_f16_e32 v54, v10, v27
	v_sub_f16_e32 v8, v7, v41
	v_sub_f16_e32 v10, v13, v18
	;; [unrolled: 1-line block ×8, first 2 shown]
	v_add_co_ci_u32_e32 v5, vcc_lo, v6, v40, vcc_lo
	v_add_f16_e32 v6, v8, v10
	v_sub_f16_e32 v20, v12, v15
	v_add_f16_e32 v21, v16, v18
	v_sub_f16_e32 v22, v11, v19
	v_fma_f16 v7, v7, 2.0, -v8
	v_fma_f16 v19, v53, 2.0, -v19
	;; [unrolled: 1-line block ×8, first 2 shown]
	v_fmamk_f16 v18, v21, 0x39a8, v6
	v_sub_f16_e32 v19, v7, v19
	v_sub_f16_e32 v9, v17, v9
	;; [unrolled: 1-line block ×4, first 2 shown]
	v_fma_f16 v8, v8, 2.0, -v6
	v_fma_f16 v16, v16, 2.0, -v21
	;; [unrolled: 1-line block ×4, first 2 shown]
	v_fmamk_f16 v23, v20, 0x39a8, v22
	v_fmac_f16_e32 v18, 0x39a8, v20
	v_add_f16_e32 v20, v19, v9
	v_fmamk_f16 v24, v16, 0xb9a8, v8
	v_fma_f16 v7, v7, 2.0, -v19
	v_fma_f16 v13, v13, 2.0, -v15
	;; [unrolled: 1-line block ×4, first 2 shown]
	v_fmamk_f16 v25, v12, 0xb9a8, v11
	v_fmac_f16_e32 v24, 0x39a8, v12
	v_sub_f16_e32 v12, v7, v13
	v_fmac_f16_e32 v23, 0xb9a8, v21
	v_sub_f16_e32 v9, v14, v9
	;; [unrolled: 2-line block ×3, first 2 shown]
	v_fma_f16 v7, v7, 2.0, -v12
	v_fma_f16 v8, v8, 2.0, -v24
	;; [unrolled: 1-line block ×8, first 2 shown]
	v_pack_b32_f16 v7, v7, v14
	v_pack_b32_f16 v8, v8, v11
	;; [unrolled: 1-line block ×8, first 2 shown]
	global_store_dword v[0:1], v7, off
	global_store_dword v[2:3], v8, off
	;; [unrolled: 1-line block ×8, first 2 shown]
	s_endpgm
	.section	.rodata,"a",@progbits
	.p2align	6, 0x0
	.amdhsa_kernel fft_rtc_back_len728_factors_13_7_8_wgs_104_tpt_104_halfLds_half_op_CI_CI_sbrr_dirReg
		.amdhsa_group_segment_fixed_size 0
		.amdhsa_private_segment_fixed_size 0
		.amdhsa_kernarg_size 104
		.amdhsa_user_sgpr_count 6
		.amdhsa_user_sgpr_private_segment_buffer 1
		.amdhsa_user_sgpr_dispatch_ptr 0
		.amdhsa_user_sgpr_queue_ptr 0
		.amdhsa_user_sgpr_kernarg_segment_ptr 1
		.amdhsa_user_sgpr_dispatch_id 0
		.amdhsa_user_sgpr_flat_scratch_init 0
		.amdhsa_user_sgpr_private_segment_size 0
		.amdhsa_wavefront_size32 1
		.amdhsa_uses_dynamic_stack 0
		.amdhsa_system_sgpr_private_segment_wavefront_offset 0
		.amdhsa_system_sgpr_workgroup_id_x 1
		.amdhsa_system_sgpr_workgroup_id_y 0
		.amdhsa_system_sgpr_workgroup_id_z 0
		.amdhsa_system_sgpr_workgroup_info 0
		.amdhsa_system_vgpr_workitem_id 0
		.amdhsa_next_free_vgpr 70
		.amdhsa_next_free_sgpr 31
		.amdhsa_reserve_vcc 1
		.amdhsa_reserve_flat_scratch 0
		.amdhsa_float_round_mode_32 0
		.amdhsa_float_round_mode_16_64 0
		.amdhsa_float_denorm_mode_32 3
		.amdhsa_float_denorm_mode_16_64 3
		.amdhsa_dx10_clamp 1
		.amdhsa_ieee_mode 1
		.amdhsa_fp16_overflow 0
		.amdhsa_workgroup_processor_mode 1
		.amdhsa_memory_ordered 1
		.amdhsa_forward_progress 0
		.amdhsa_shared_vgpr_count 0
		.amdhsa_exception_fp_ieee_invalid_op 0
		.amdhsa_exception_fp_denorm_src 0
		.amdhsa_exception_fp_ieee_div_zero 0
		.amdhsa_exception_fp_ieee_overflow 0
		.amdhsa_exception_fp_ieee_underflow 0
		.amdhsa_exception_fp_ieee_inexact 0
		.amdhsa_exception_int_div_zero 0
	.end_amdhsa_kernel
	.text
.Lfunc_end0:
	.size	fft_rtc_back_len728_factors_13_7_8_wgs_104_tpt_104_halfLds_half_op_CI_CI_sbrr_dirReg, .Lfunc_end0-fft_rtc_back_len728_factors_13_7_8_wgs_104_tpt_104_halfLds_half_op_CI_CI_sbrr_dirReg
                                        ; -- End function
	.section	.AMDGPU.csdata,"",@progbits
; Kernel info:
; codeLenInByte = 7640
; NumSgprs: 33
; NumVgprs: 70
; ScratchSize: 0
; MemoryBound: 0
; FloatMode: 240
; IeeeMode: 1
; LDSByteSize: 0 bytes/workgroup (compile time only)
; SGPRBlocks: 4
; VGPRBlocks: 8
; NumSGPRsForWavesPerEU: 33
; NumVGPRsForWavesPerEU: 70
; Occupancy: 12
; WaveLimiterHint : 1
; COMPUTE_PGM_RSRC2:SCRATCH_EN: 0
; COMPUTE_PGM_RSRC2:USER_SGPR: 6
; COMPUTE_PGM_RSRC2:TRAP_HANDLER: 0
; COMPUTE_PGM_RSRC2:TGID_X_EN: 1
; COMPUTE_PGM_RSRC2:TGID_Y_EN: 0
; COMPUTE_PGM_RSRC2:TGID_Z_EN: 0
; COMPUTE_PGM_RSRC2:TIDIG_COMP_CNT: 0
	.text
	.p2alignl 6, 3214868480
	.fill 48, 4, 3214868480
	.type	__hip_cuid_37dfcdbc5417ffa5,@object ; @__hip_cuid_37dfcdbc5417ffa5
	.section	.bss,"aw",@nobits
	.globl	__hip_cuid_37dfcdbc5417ffa5
__hip_cuid_37dfcdbc5417ffa5:
	.byte	0                               ; 0x0
	.size	__hip_cuid_37dfcdbc5417ffa5, 1

	.ident	"AMD clang version 19.0.0git (https://github.com/RadeonOpenCompute/llvm-project roc-6.4.0 25133 c7fe45cf4b819c5991fe208aaa96edf142730f1d)"
	.section	".note.GNU-stack","",@progbits
	.addrsig
	.addrsig_sym __hip_cuid_37dfcdbc5417ffa5
	.amdgpu_metadata
---
amdhsa.kernels:
  - .args:
      - .actual_access:  read_only
        .address_space:  global
        .offset:         0
        .size:           8
        .value_kind:     global_buffer
      - .offset:         8
        .size:           8
        .value_kind:     by_value
      - .actual_access:  read_only
        .address_space:  global
        .offset:         16
        .size:           8
        .value_kind:     global_buffer
      - .actual_access:  read_only
        .address_space:  global
        .offset:         24
        .size:           8
        .value_kind:     global_buffer
      - .actual_access:  read_only
        .address_space:  global
        .offset:         32
        .size:           8
        .value_kind:     global_buffer
      - .offset:         40
        .size:           8
        .value_kind:     by_value
      - .actual_access:  read_only
        .address_space:  global
        .offset:         48
        .size:           8
        .value_kind:     global_buffer
      - .actual_access:  read_only
        .address_space:  global
        .offset:         56
        .size:           8
        .value_kind:     global_buffer
      - .offset:         64
        .size:           4
        .value_kind:     by_value
      - .actual_access:  read_only
        .address_space:  global
        .offset:         72
        .size:           8
        .value_kind:     global_buffer
      - .actual_access:  read_only
        .address_space:  global
        .offset:         80
        .size:           8
        .value_kind:     global_buffer
      - .actual_access:  read_only
        .address_space:  global
        .offset:         88
        .size:           8
        .value_kind:     global_buffer
      - .actual_access:  write_only
        .address_space:  global
        .offset:         96
        .size:           8
        .value_kind:     global_buffer
    .group_segment_fixed_size: 0
    .kernarg_segment_align: 8
    .kernarg_segment_size: 104
    .language:       OpenCL C
    .language_version:
      - 2
      - 0
    .max_flat_workgroup_size: 104
    .name:           fft_rtc_back_len728_factors_13_7_8_wgs_104_tpt_104_halfLds_half_op_CI_CI_sbrr_dirReg
    .private_segment_fixed_size: 0
    .sgpr_count:     33
    .sgpr_spill_count: 0
    .symbol:         fft_rtc_back_len728_factors_13_7_8_wgs_104_tpt_104_halfLds_half_op_CI_CI_sbrr_dirReg.kd
    .uniform_work_group_size: 1
    .uses_dynamic_stack: false
    .vgpr_count:     70
    .vgpr_spill_count: 0
    .wavefront_size: 32
    .workgroup_processor_mode: 1
amdhsa.target:   amdgcn-amd-amdhsa--gfx1030
amdhsa.version:
  - 1
  - 2
...

	.end_amdgpu_metadata
